;; amdgpu-corpus repo=ROCm/rocFFT kind=compiled arch=gfx906 opt=O3
	.text
	.amdgcn_target "amdgcn-amd-amdhsa--gfx906"
	.amdhsa_code_object_version 6
	.protected	fft_rtc_fwd_len264_factors_8_3_11_wgs_231_tpt_33_dp_ip_CI_unitstride_sbrr_C2R_dirReg ; -- Begin function fft_rtc_fwd_len264_factors_8_3_11_wgs_231_tpt_33_dp_ip_CI_unitstride_sbrr_C2R_dirReg
	.globl	fft_rtc_fwd_len264_factors_8_3_11_wgs_231_tpt_33_dp_ip_CI_unitstride_sbrr_C2R_dirReg
	.p2align	8
	.type	fft_rtc_fwd_len264_factors_8_3_11_wgs_231_tpt_33_dp_ip_CI_unitstride_sbrr_C2R_dirReg,@function
fft_rtc_fwd_len264_factors_8_3_11_wgs_231_tpt_33_dp_ip_CI_unitstride_sbrr_C2R_dirReg: ; @fft_rtc_fwd_len264_factors_8_3_11_wgs_231_tpt_33_dp_ip_CI_unitstride_sbrr_C2R_dirReg
; %bb.0:
	s_load_dwordx2 s[2:3], s[4:5], 0x50
	s_load_dwordx4 s[8:11], s[4:5], 0x0
	s_load_dwordx2 s[12:13], s[4:5], 0x18
	v_mul_u32_u24_e32 v1, 0x7c2, v0
	v_lshrrev_b32_e32 v1, 16, v1
	v_mad_u64_u32 v[1:2], s[0:1], s6, 7, v[1:2]
	v_mov_b32_e32 v5, 0
	s_waitcnt lgkmcnt(0)
	v_cmp_lt_u64_e64 s[0:1], s[10:11], 2
	v_mov_b32_e32 v2, v5
	v_mov_b32_e32 v3, 0
	;; [unrolled: 1-line block ×3, first 2 shown]
	s_and_b64 vcc, exec, s[0:1]
	v_mov_b32_e32 v4, 0
	v_mov_b32_e32 v9, v1
	s_cbranch_vccnz .LBB0_8
; %bb.1:
	s_load_dwordx2 s[0:1], s[4:5], 0x10
	s_add_u32 s6, s12, 8
	s_addc_u32 s7, s13, 0
	v_mov_b32_e32 v3, 0
	v_mov_b32_e32 v8, v2
	s_waitcnt lgkmcnt(0)
	s_add_u32 s16, s0, 8
	s_mov_b64 s[14:15], 1
	v_mov_b32_e32 v4, 0
	s_addc_u32 s17, s1, 0
	v_mov_b32_e32 v7, v1
.LBB0_2:                                ; =>This Inner Loop Header: Depth=1
	s_load_dwordx2 s[18:19], s[16:17], 0x0
                                        ; implicit-def: $vgpr9_vgpr10
	s_waitcnt lgkmcnt(0)
	v_or_b32_e32 v6, s19, v8
	v_cmp_ne_u64_e32 vcc, 0, v[5:6]
	s_and_saveexec_b64 s[0:1], vcc
	s_xor_b64 s[20:21], exec, s[0:1]
	s_cbranch_execz .LBB0_4
; %bb.3:                                ;   in Loop: Header=BB0_2 Depth=1
	v_cvt_f32_u32_e32 v2, s18
	v_cvt_f32_u32_e32 v6, s19
	s_sub_u32 s0, 0, s18
	s_subb_u32 s1, 0, s19
	v_mac_f32_e32 v2, 0x4f800000, v6
	v_rcp_f32_e32 v2, v2
	v_mul_f32_e32 v2, 0x5f7ffffc, v2
	v_mul_f32_e32 v6, 0x2f800000, v2
	v_trunc_f32_e32 v6, v6
	v_mac_f32_e32 v2, 0xcf800000, v6
	v_cvt_u32_f32_e32 v6, v6
	v_cvt_u32_f32_e32 v2, v2
	v_mul_lo_u32 v9, s0, v6
	v_mul_hi_u32 v10, s0, v2
	v_mul_lo_u32 v12, s1, v2
	v_mul_lo_u32 v11, s0, v2
	v_add_u32_e32 v9, v10, v9
	v_add_u32_e32 v9, v9, v12
	v_mul_hi_u32 v10, v2, v11
	v_mul_lo_u32 v12, v2, v9
	v_mul_hi_u32 v14, v2, v9
	v_mul_hi_u32 v13, v6, v11
	v_mul_lo_u32 v11, v6, v11
	v_mul_hi_u32 v15, v6, v9
	v_add_co_u32_e32 v10, vcc, v10, v12
	v_addc_co_u32_e32 v12, vcc, 0, v14, vcc
	v_mul_lo_u32 v9, v6, v9
	v_add_co_u32_e32 v10, vcc, v10, v11
	v_addc_co_u32_e32 v10, vcc, v12, v13, vcc
	v_addc_co_u32_e32 v11, vcc, 0, v15, vcc
	v_add_co_u32_e32 v9, vcc, v10, v9
	v_addc_co_u32_e32 v10, vcc, 0, v11, vcc
	v_add_co_u32_e32 v2, vcc, v2, v9
	v_addc_co_u32_e32 v6, vcc, v6, v10, vcc
	v_mul_lo_u32 v9, s0, v6
	v_mul_hi_u32 v10, s0, v2
	v_mul_lo_u32 v11, s1, v2
	v_mul_lo_u32 v12, s0, v2
	v_add_u32_e32 v9, v10, v9
	v_add_u32_e32 v9, v9, v11
	v_mul_lo_u32 v13, v2, v9
	v_mul_hi_u32 v14, v2, v12
	v_mul_hi_u32 v15, v2, v9
	;; [unrolled: 1-line block ×3, first 2 shown]
	v_mul_lo_u32 v12, v6, v12
	v_mul_hi_u32 v10, v6, v9
	v_add_co_u32_e32 v13, vcc, v14, v13
	v_addc_co_u32_e32 v14, vcc, 0, v15, vcc
	v_mul_lo_u32 v9, v6, v9
	v_add_co_u32_e32 v12, vcc, v13, v12
	v_addc_co_u32_e32 v11, vcc, v14, v11, vcc
	v_addc_co_u32_e32 v10, vcc, 0, v10, vcc
	v_add_co_u32_e32 v9, vcc, v11, v9
	v_addc_co_u32_e32 v10, vcc, 0, v10, vcc
	v_add_co_u32_e32 v2, vcc, v2, v9
	v_addc_co_u32_e32 v6, vcc, v6, v10, vcc
	v_mad_u64_u32 v[9:10], s[0:1], v7, v6, 0
	v_mul_hi_u32 v11, v7, v2
	v_add_co_u32_e32 v13, vcc, v11, v9
	v_addc_co_u32_e32 v14, vcc, 0, v10, vcc
	v_mad_u64_u32 v[9:10], s[0:1], v8, v2, 0
	v_mad_u64_u32 v[11:12], s[0:1], v8, v6, 0
	v_add_co_u32_e32 v2, vcc, v13, v9
	v_addc_co_u32_e32 v2, vcc, v14, v10, vcc
	v_addc_co_u32_e32 v6, vcc, 0, v12, vcc
	v_add_co_u32_e32 v2, vcc, v2, v11
	v_addc_co_u32_e32 v6, vcc, 0, v6, vcc
	v_mul_lo_u32 v11, s19, v2
	v_mul_lo_u32 v12, s18, v6
	v_mad_u64_u32 v[9:10], s[0:1], s18, v2, 0
	v_add3_u32 v10, v10, v12, v11
	v_sub_u32_e32 v11, v8, v10
	v_mov_b32_e32 v12, s19
	v_sub_co_u32_e32 v9, vcc, v7, v9
	v_subb_co_u32_e64 v11, s[0:1], v11, v12, vcc
	v_subrev_co_u32_e64 v12, s[0:1], s18, v9
	v_subbrev_co_u32_e64 v11, s[0:1], 0, v11, s[0:1]
	v_cmp_le_u32_e64 s[0:1], s19, v11
	v_cndmask_b32_e64 v13, 0, -1, s[0:1]
	v_cmp_le_u32_e64 s[0:1], s18, v12
	v_cndmask_b32_e64 v12, 0, -1, s[0:1]
	v_cmp_eq_u32_e64 s[0:1], s19, v11
	v_cndmask_b32_e64 v11, v13, v12, s[0:1]
	v_add_co_u32_e64 v12, s[0:1], 2, v2
	v_addc_co_u32_e64 v13, s[0:1], 0, v6, s[0:1]
	v_add_co_u32_e64 v14, s[0:1], 1, v2
	v_addc_co_u32_e64 v15, s[0:1], 0, v6, s[0:1]
	v_subb_co_u32_e32 v10, vcc, v8, v10, vcc
	v_cmp_ne_u32_e64 s[0:1], 0, v11
	v_cmp_le_u32_e32 vcc, s19, v10
	v_cndmask_b32_e64 v11, v15, v13, s[0:1]
	v_cndmask_b32_e64 v13, 0, -1, vcc
	v_cmp_le_u32_e32 vcc, s18, v9
	v_cndmask_b32_e64 v9, 0, -1, vcc
	v_cmp_eq_u32_e32 vcc, s19, v10
	v_cndmask_b32_e32 v9, v13, v9, vcc
	v_cmp_ne_u32_e32 vcc, 0, v9
	v_cndmask_b32_e32 v10, v6, v11, vcc
	v_cndmask_b32_e64 v6, v14, v12, s[0:1]
	v_cndmask_b32_e32 v9, v2, v6, vcc
.LBB0_4:                                ;   in Loop: Header=BB0_2 Depth=1
	s_andn2_saveexec_b64 s[0:1], s[20:21]
	s_cbranch_execz .LBB0_6
; %bb.5:                                ;   in Loop: Header=BB0_2 Depth=1
	v_cvt_f32_u32_e32 v2, s18
	s_sub_i32 s20, 0, s18
	v_rcp_iflag_f32_e32 v2, v2
	v_mul_f32_e32 v2, 0x4f7ffffe, v2
	v_cvt_u32_f32_e32 v2, v2
	v_mul_lo_u32 v6, s20, v2
	v_mul_hi_u32 v6, v2, v6
	v_add_u32_e32 v2, v2, v6
	v_mul_hi_u32 v2, v7, v2
	v_mul_lo_u32 v6, v2, s18
	v_add_u32_e32 v9, 1, v2
	v_sub_u32_e32 v6, v7, v6
	v_subrev_u32_e32 v10, s18, v6
	v_cmp_le_u32_e32 vcc, s18, v6
	v_cndmask_b32_e32 v6, v6, v10, vcc
	v_cndmask_b32_e32 v2, v2, v9, vcc
	v_add_u32_e32 v9, 1, v2
	v_cmp_le_u32_e32 vcc, s18, v6
	v_cndmask_b32_e32 v9, v2, v9, vcc
	v_mov_b32_e32 v10, v5
.LBB0_6:                                ;   in Loop: Header=BB0_2 Depth=1
	s_or_b64 exec, exec, s[0:1]
	v_mul_lo_u32 v2, v10, s18
	v_mul_lo_u32 v6, v9, s19
	v_mad_u64_u32 v[11:12], s[0:1], v9, s18, 0
	s_load_dwordx2 s[0:1], s[6:7], 0x0
	s_add_u32 s14, s14, 1
	v_add3_u32 v2, v12, v6, v2
	v_sub_co_u32_e32 v6, vcc, v7, v11
	v_subb_co_u32_e32 v2, vcc, v8, v2, vcc
	s_waitcnt lgkmcnt(0)
	v_mul_lo_u32 v2, s0, v2
	v_mul_lo_u32 v7, s1, v6
	v_mad_u64_u32 v[3:4], s[0:1], s0, v6, v[3:4]
	s_addc_u32 s15, s15, 0
	s_add_u32 s6, s6, 8
	v_add3_u32 v4, v7, v4, v2
	v_mov_b32_e32 v6, s10
	v_mov_b32_e32 v7, s11
	s_addc_u32 s7, s7, 0
	v_cmp_ge_u64_e32 vcc, s[14:15], v[6:7]
	s_add_u32 s16, s16, 8
	s_addc_u32 s17, s17, 0
	s_cbranch_vccnz .LBB0_8
; %bb.7:                                ;   in Loop: Header=BB0_2 Depth=1
	v_mov_b32_e32 v7, v9
	v_mov_b32_e32 v8, v10
	s_branch .LBB0_2
.LBB0_8:
	s_lshl_b64 s[0:1], s[10:11], 3
	s_add_u32 s0, s12, s0
	s_addc_u32 s1, s13, s1
	s_load_dwordx2 s[6:7], s[0:1], 0x0
	s_load_dwordx2 s[10:11], s[4:5], 0x20
	s_mov_b32 s0, 0x24924925
	v_mul_hi_u32 v5, v1, s0
	s_waitcnt lgkmcnt(0)
	v_mad_u64_u32 v[2:3], s[0:1], s6, v9, v[3:4]
	v_sub_u32_e32 v4, v1, v5
	v_lshrrev_b32_e32 v4, 1, v4
	v_add_u32_e32 v4, v4, v5
	v_lshrrev_b32_e32 v4, 2, v4
	v_mul_lo_u32 v6, s6, v10
	v_mul_lo_u32 v7, s7, v9
	;; [unrolled: 1-line block ×3, first 2 shown]
	s_mov_b32 s0, 0x7c1f07d
	v_mul_hi_u32 v5, v0, s0
	v_add3_u32 v3, v7, v3, v6
	v_sub_u32_e32 v1, v1, v4
	v_mul_u32_u24_e32 v1, 0x109, v1
	v_cmp_gt_u64_e64 s[0:1], s[10:11], v[9:10]
	v_mul_u32_u24_e32 v4, 33, v5
	v_lshlrev_b64 v[46:47], 4, v[2:3]
	v_sub_u32_e32 v44, v0, v4
	v_lshlrev_b32_e32 v36, 4, v1
	s_and_saveexec_b64 s[4:5], s[0:1]
	s_cbranch_execz .LBB0_12
; %bb.9:
	v_mov_b32_e32 v45, 0
	v_mov_b32_e32 v0, s3
	v_add_co_u32_e32 v2, vcc, s2, v46
	v_lshlrev_b64 v[3:4], 4, v[44:45]
	v_addc_co_u32_e32 v0, vcc, v0, v47, vcc
	v_add_co_u32_e32 v37, vcc, v2, v3
	v_addc_co_u32_e32 v38, vcc, v0, v4, vcc
	global_load_dwordx4 v[4:7], v[37:38], off
	global_load_dwordx4 v[8:11], v[37:38], off offset:528
	global_load_dwordx4 v[12:15], v[37:38], off offset:1056
	;; [unrolled: 1-line block ×7, first 2 shown]
	v_lshlrev_b32_e32 v3, 4, v44
	v_add3_u32 v3, 0, v36, v3
	v_cmp_eq_u32_e32 vcc, 32, v44
	s_waitcnt vmcnt(7)
	ds_write_b128 v3, v[4:7]
	s_waitcnt vmcnt(6)
	ds_write_b128 v3, v[8:11] offset:528
	s_waitcnt vmcnt(5)
	ds_write_b128 v3, v[12:15] offset:1056
	;; [unrolled: 2-line block ×7, first 2 shown]
	s_and_saveexec_b64 s[6:7], vcc
	s_cbranch_execz .LBB0_11
; %bb.10:
	v_add_co_u32_e32 v4, vcc, 0x1000, v2
	v_addc_co_u32_e32 v5, vcc, 0, v0, vcc
	global_load_dwordx4 v[4:7], v[4:5], off offset:128
	v_mov_b32_e32 v44, 32
	s_waitcnt vmcnt(0)
	ds_write_b128 v3, v[4:7] offset:3712
.LBB0_11:
	s_or_b64 exec, exec, s[6:7]
.LBB0_12:
	s_or_b64 exec, exec, s[4:5]
	v_lshl_add_u32 v96, v1, 4, 0
	v_lshlrev_b32_e32 v7, 4, v44
	v_add_u32_e32 v97, v96, v7
	s_waitcnt lgkmcnt(0)
	s_barrier
	v_sub_u32_e32 v6, v96, v7
	ds_read_b64 v[2:3], v97
	ds_read_b64 v[4:5], v6 offset:4224
	s_add_u32 s6, s8, 0x1000
	s_addc_u32 s7, s9, 0
	v_cmp_ne_u32_e32 vcc, 0, v44
	s_waitcnt lgkmcnt(0)
	v_add_f64 v[0:1], v[2:3], v[4:5]
	v_add_f64 v[2:3], v[2:3], -v[4:5]
                                        ; implicit-def: $vgpr4_vgpr5
	s_and_saveexec_b64 s[4:5], vcc
	s_xor_b64 s[4:5], exec, s[4:5]
	s_cbranch_execz .LBB0_14
; %bb.13:
	v_mov_b32_e32 v45, 0
	v_lshlrev_b64 v[4:5], 4, v[44:45]
	v_mov_b32_e32 v8, s7
	v_add_co_u32_e32 v4, vcc, s6, v4
	v_addc_co_u32_e32 v5, vcc, v8, v5, vcc
	global_load_dwordx4 v[8:11], v[4:5], off
	ds_read_b64 v[4:5], v6 offset:4232
	ds_read_b64 v[12:13], v97 offset:8
	s_waitcnt lgkmcnt(0)
	v_add_f64 v[14:15], v[4:5], v[12:13]
	v_add_f64 v[4:5], v[12:13], -v[4:5]
	s_waitcnt vmcnt(0)
	v_fma_f64 v[12:13], v[2:3], v[10:11], v[0:1]
	v_fma_f64 v[16:17], v[14:15], v[10:11], v[4:5]
	v_fma_f64 v[4:5], v[14:15], v[10:11], -v[4:5]
	v_fma_f64 v[0:1], -v[2:3], v[10:11], v[0:1]
	v_fma_f64 v[10:11], -v[14:15], v[8:9], v[12:13]
	v_fma_f64 v[12:13], v[2:3], v[8:9], v[16:17]
	v_fma_f64 v[2:3], v[2:3], v[8:9], v[4:5]
	v_fma_f64 v[0:1], v[14:15], v[8:9], v[0:1]
	v_mov_b32_e32 v4, v44
	v_mov_b32_e32 v5, v45
	ds_write_b128 v97, v[10:13]
	ds_write_b128 v6, v[0:3] offset:4224
                                        ; implicit-def: $vgpr0_vgpr1
.LBB0_14:
	s_andn2_saveexec_b64 s[4:5], s[4:5]
	s_cbranch_execz .LBB0_16
; %bb.15:
	ds_write_b128 v97, v[0:3]
	ds_read_b128 v[0:3], v96 offset:2112
	v_mov_b32_e32 v4, 0
	v_mov_b32_e32 v5, 0
	s_waitcnt lgkmcnt(0)
	v_add_f64 v[0:1], v[0:1], v[0:1]
	v_mul_f64 v[2:3], v[2:3], -2.0
	ds_write_b128 v96, v[0:3] offset:2112
.LBB0_16:
	s_or_b64 exec, exec, s[4:5]
	v_lshlrev_b64 v[0:1], 4, v[4:5]
	v_mov_b32_e32 v2, s7
	v_add_co_u32_e32 v4, vcc, s6, v0
	v_addc_co_u32_e32 v5, vcc, v2, v1, vcc
	global_load_dwordx4 v[0:3], v[4:5], off offset:528
	global_load_dwordx4 v[8:11], v[4:5], off offset:1056
	ds_read_b128 v[12:15], v97 offset:528
	ds_read_b128 v[16:19], v6 offset:3696
	global_load_dwordx4 v[20:23], v[4:5], off offset:1584
	v_add3_u32 v45, 0, v7, v36
	s_mov_b32 s4, 0x667f3bcd
	s_mov_b32 s5, 0xbfe6a09e
	s_waitcnt lgkmcnt(0)
	v_add_f64 v[4:5], v[12:13], v[16:17]
	v_add_f64 v[24:25], v[18:19], v[14:15]
	v_add_f64 v[16:17], v[12:13], -v[16:17]
	v_add_f64 v[12:13], v[14:15], -v[18:19]
	s_mov_b32 s7, 0x3fe6a09e
	s_mov_b32 s6, s4
	s_movk_i32 s10, 0x70
	v_mad_u32_u24 v43, v44, s10, v45
	v_cmp_gt_u32_e32 vcc, 22, v44
	s_waitcnt vmcnt(2)
	v_fma_f64 v[14:15], v[16:17], v[2:3], v[4:5]
	v_fma_f64 v[18:19], v[24:25], v[2:3], v[12:13]
	v_fma_f64 v[26:27], -v[16:17], v[2:3], v[4:5]
	v_fma_f64 v[28:29], v[24:25], v[2:3], -v[12:13]
	v_fma_f64 v[2:3], -v[24:25], v[0:1], v[14:15]
	v_fma_f64 v[4:5], v[16:17], v[0:1], v[18:19]
	v_fma_f64 v[12:13], v[24:25], v[0:1], v[26:27]
	;; [unrolled: 1-line block ×3, first 2 shown]
	ds_write_b128 v97, v[2:5] offset:528
	ds_write_b128 v6, v[12:15] offset:3696
	ds_read_b128 v[0:3], v97 offset:1056
	ds_read_b128 v[12:15], v6 offset:3168
	s_waitcnt lgkmcnt(0)
	v_add_f64 v[4:5], v[0:1], v[12:13]
	v_add_f64 v[16:17], v[14:15], v[2:3]
	v_add_f64 v[12:13], v[0:1], -v[12:13]
	v_add_f64 v[0:1], v[2:3], -v[14:15]
	s_waitcnt vmcnt(1)
	v_fma_f64 v[2:3], v[12:13], v[10:11], v[4:5]
	v_fma_f64 v[14:15], v[16:17], v[10:11], v[0:1]
	v_fma_f64 v[4:5], -v[12:13], v[10:11], v[4:5]
	v_fma_f64 v[18:19], v[16:17], v[10:11], -v[0:1]
	v_fma_f64 v[0:1], -v[16:17], v[8:9], v[2:3]
	v_fma_f64 v[2:3], v[12:13], v[8:9], v[14:15]
	v_fma_f64 v[10:11], v[16:17], v[8:9], v[4:5]
	;; [unrolled: 1-line block ×3, first 2 shown]
	ds_write_b128 v97, v[0:3] offset:1056
	ds_write_b128 v6, v[10:13] offset:3168
	ds_read_b128 v[0:3], v97 offset:1584
	ds_read_b128 v[8:11], v6 offset:2640
	s_waitcnt lgkmcnt(0)
	v_add_f64 v[4:5], v[0:1], v[8:9]
	v_add_f64 v[12:13], v[10:11], v[2:3]
	v_add_f64 v[14:15], v[0:1], -v[8:9]
	v_add_f64 v[0:1], v[2:3], -v[10:11]
	s_waitcnt vmcnt(0)
	v_fma_f64 v[2:3], v[14:15], v[22:23], v[4:5]
	v_fma_f64 v[8:9], v[12:13], v[22:23], v[0:1]
	v_fma_f64 v[4:5], -v[14:15], v[22:23], v[4:5]
	v_fma_f64 v[10:11], v[12:13], v[22:23], -v[0:1]
	v_fma_f64 v[0:1], -v[12:13], v[20:21], v[2:3]
	v_fma_f64 v[2:3], v[14:15], v[20:21], v[8:9]
	v_fma_f64 v[7:8], v[12:13], v[20:21], v[4:5]
	;; [unrolled: 1-line block ×3, first 2 shown]
	ds_write_b128 v97, v[0:3] offset:1584
	ds_write_b128 v6, v[7:10] offset:2640
	s_waitcnt lgkmcnt(0)
	s_barrier
	s_barrier
	ds_read_b128 v[0:3], v97
	ds_read_b128 v[4:7], v45 offset:528
	ds_read_b128 v[8:11], v45 offset:2112
	;; [unrolled: 1-line block ×7, first 2 shown]
	s_waitcnt lgkmcnt(5)
	v_add_f64 v[8:9], v[0:1], -v[8:9]
	v_add_f64 v[10:11], v[2:3], -v[10:11]
	s_waitcnt lgkmcnt(4)
	v_add_f64 v[12:13], v[4:5], -v[12:13]
	s_waitcnt lgkmcnt(1)
	v_add_f64 v[24:25], v[16:17], -v[24:25]
	v_add_f64 v[26:27], v[18:19], -v[26:27]
	;; [unrolled: 1-line block ×3, first 2 shown]
	s_waitcnt lgkmcnt(0)
	v_add_f64 v[30:31], v[22:23], -v[30:31]
	v_add_f64 v[28:29], v[20:21], -v[28:29]
	v_fma_f64 v[0:1], v[0:1], 2.0, -v[8:9]
	v_fma_f64 v[2:3], v[2:3], 2.0, -v[10:11]
	;; [unrolled: 1-line block ×6, first 2 shown]
	v_add_f64 v[32:33], v[12:13], -v[30:31]
	v_add_f64 v[34:35], v[14:15], v[28:29]
	v_fma_f64 v[20:21], v[20:21], 2.0, -v[28:29]
	v_fma_f64 v[22:23], v[22:23], 2.0, -v[30:31]
	v_add_f64 v[26:27], v[8:9], -v[26:27]
	v_add_f64 v[24:25], v[10:11], v[24:25]
	v_add_f64 v[16:17], v[0:1], -v[16:17]
	v_add_f64 v[18:19], v[2:3], -v[18:19]
	v_fma_f64 v[28:29], v[12:13], 2.0, -v[32:33]
	v_fma_f64 v[12:13], v[14:15], 2.0, -v[34:35]
	v_add_f64 v[14:15], v[4:5], -v[20:21]
	v_add_f64 v[20:21], v[6:7], -v[22:23]
	v_fma_f64 v[30:31], v[8:9], 2.0, -v[26:27]
	v_fma_f64 v[37:38], v[10:11], 2.0, -v[24:25]
	v_fma_f64 v[8:9], v[34:35], s[6:7], v[24:25]
	v_fma_f64 v[10:11], v[32:33], s[6:7], v[26:27]
	v_fma_f64 v[39:40], v[0:1], 2.0, -v[16:17]
	v_fma_f64 v[41:42], v[2:3], 2.0, -v[18:19]
	;; [unrolled: 1-line block ×4, first 2 shown]
	v_fma_f64 v[50:51], v[28:29], s[4:5], v[30:31]
	v_fma_f64 v[52:53], v[12:13], s[4:5], v[37:38]
	v_add_f64 v[4:5], v[16:17], -v[20:21]
	v_add_f64 v[6:7], v[18:19], v[14:15]
	v_fma_f64 v[0:1], v[34:35], s[4:5], v[10:11]
	v_fma_f64 v[2:3], v[32:33], s[6:7], v[8:9]
	v_add_f64 v[8:9], v[39:40], -v[22:23]
	v_add_f64 v[10:11], v[41:42], -v[48:49]
	v_fma_f64 v[12:13], v[12:13], s[4:5], v[50:51]
	v_fma_f64 v[14:15], v[28:29], s[6:7], v[52:53]
	v_fma_f64 v[16:17], v[16:17], 2.0, -v[4:5]
	v_fma_f64 v[18:19], v[18:19], 2.0, -v[6:7]
	;; [unrolled: 1-line block ×8, first 2 shown]
	s_barrier
	ds_write_b128 v43, v[4:7] offset:96
	ds_write_b128 v43, v[0:3] offset:112
	;; [unrolled: 1-line block ×6, first 2 shown]
	ds_write_b128 v43, v[24:27]
	ds_write_b128 v43, v[28:31] offset:16
	s_waitcnt lgkmcnt(0)
	s_barrier
	ds_read_b128 v[12:15], v97
	ds_read_b128 v[8:11], v45 offset:528
	ds_read_b128 v[24:27], v45 offset:1408
	;; [unrolled: 1-line block ×5, first 2 shown]
                                        ; implicit-def: $vgpr34_vgpr35
	s_and_saveexec_b64 s[4:5], vcc
	s_cbranch_execz .LBB0_18
; %bb.17:
	ds_read_b128 v[4:7], v45 offset:1056
	ds_read_b128 v[0:3], v45 offset:2464
	;; [unrolled: 1-line block ×3, first 2 shown]
.LBB0_18:
	s_or_b64 exec, exec, s[4:5]
	v_and_b32_e32 v43, 7, v44
	v_add_u32_e32 v68, 33, v44
	v_lshlrev_b32_e32 v37, 5, v43
	v_and_b32_e32 v69, 7, v68
	global_load_dwordx4 v[39:42], v37, s[8:9]
	global_load_dwordx4 v[48:51], v37, s[8:9] offset:16
	v_lshlrev_b32_e32 v37, 5, v69
	v_add_u32_e32 v38, 0x42, v44
	global_load_dwordx4 v[52:55], v37, s[8:9]
	global_load_dwordx4 v[56:59], v37, s[8:9] offset:16
	v_and_b32_e32 v37, 7, v38
	v_lshlrev_b32_e32 v70, 5, v37
	global_load_dwordx4 v[60:63], v70, s[8:9]
	global_load_dwordx4 v[64:67], v70, s[8:9] offset:16
	v_lshrrev_b32_e32 v68, 3, v68
	v_lshrrev_b32_e32 v70, 3, v44
	v_mul_u32_u24_e32 v68, 24, v68
	v_mul_u32_u24_e32 v70, 24, v70
	v_or_b32_e32 v68, v68, v69
	v_or_b32_e32 v43, v70, v43
	v_lshlrev_b32_e32 v80, 4, v68
	s_mov_b32 s4, 0xe8584caa
	s_mov_b32 s5, 0x3febb67a
	;; [unrolled: 1-line block ×4, first 2 shown]
	v_lshlrev_b32_e32 v43, 4, v43
	v_add3_u32 v43, 0, v43, v36
	s_waitcnt vmcnt(0) lgkmcnt(0)
	s_barrier
	v_mul_f64 v[68:69], v[26:27], v[41:42]
	v_mul_f64 v[41:42], v[24:25], v[41:42]
	;; [unrolled: 1-line block ×12, first 2 shown]
	v_fma_f64 v[24:25], v[24:25], v[39:40], -v[68:69]
	v_fma_f64 v[26:27], v[26:27], v[39:40], v[41:42]
	v_fma_f64 v[28:29], v[28:29], v[48:49], -v[70:71]
	v_fma_f64 v[30:31], v[30:31], v[48:49], v[50:51]
	;; [unrolled: 2-line block ×6, first 2 shown]
	v_add_f64 v[39:40], v[24:25], v[28:29]
	v_add_f64 v[41:42], v[26:27], v[30:31]
	;; [unrolled: 1-line block ×4, first 2 shown]
	v_add_f64 v[52:53], v[26:27], -v[30:31]
	v_add_f64 v[54:55], v[24:25], -v[28:29]
	v_add_f64 v[24:25], v[16:17], v[20:21]
	v_add_f64 v[26:27], v[18:19], v[22:23]
	v_add_f64 v[58:59], v[8:9], v[16:17]
	v_add_f64 v[60:61], v[16:17], -v[20:21]
	v_add_f64 v[16:17], v[0:1], v[32:33]
	v_add_f64 v[62:63], v[2:3], v[34:35]
	v_add_f64 v[56:57], v[10:11], v[18:19]
	v_add_f64 v[18:19], v[18:19], -v[22:23]
	v_add_f64 v[64:65], v[6:7], v[2:3]
	v_add_f64 v[66:67], v[4:5], v[0:1]
	v_add_f64 v[68:69], v[2:3], -v[34:35]
	v_add_f64 v[70:71], v[0:1], -v[32:33]
	v_fma_f64 v[12:13], v[39:40], -0.5, v[12:13]
	v_fma_f64 v[14:15], v[41:42], -0.5, v[14:15]
	v_add_f64 v[2:3], v[48:49], v[30:31]
	v_add_f64 v[0:1], v[50:51], v[28:29]
	v_fma_f64 v[28:29], v[24:25], -0.5, v[8:9]
	v_fma_f64 v[30:31], v[26:27], -0.5, v[10:11]
	;; [unrolled: 1-line block ×4, first 2 shown]
	v_add_f64 v[10:11], v[56:57], v[22:23]
	v_add_f64 v[8:9], v[58:59], v[20:21]
	;; [unrolled: 1-line block ×4, first 2 shown]
	v_fma_f64 v[4:5], v[52:53], s[4:5], v[12:13]
	v_fma_f64 v[12:13], v[52:53], s[6:7], v[12:13]
	;; [unrolled: 1-line block ×12, first 2 shown]
	v_add3_u32 v39, 0, v80, v36
	ds_write_b128 v43, v[0:3]
	ds_write_b128 v43, v[4:7] offset:128
	ds_write_b128 v43, v[12:15] offset:256
	ds_write_b128 v39, v[8:11]
	ds_write_b128 v39, v[16:19] offset:128
	ds_write_b128 v39, v[20:23] offset:256
	s_and_saveexec_b64 s[4:5], vcc
	s_cbranch_execz .LBB0_20
; %bb.19:
	v_lshrrev_b32_e32 v38, 3, v38
	v_mul_u32_u24_e32 v38, 24, v38
	v_or_b32_e32 v37, v38, v37
	v_lshlrev_b32_e32 v37, 4, v37
	v_add3_u32 v36, 0, v37, v36
	ds_write_b128 v36, v[24:27]
	ds_write_b128 v36, v[32:35] offset:128
	ds_write_b128 v36, v[28:31] offset:256
.LBB0_20:
	s_or_b64 exec, exec, s[4:5]
	v_cmp_gt_u32_e32 vcc, 24, v44
	s_waitcnt lgkmcnt(0)
	s_barrier
	s_waitcnt lgkmcnt(0)
                                        ; implicit-def: $vgpr42_vgpr43
                                        ; implicit-def: $vgpr38_vgpr39
	s_and_saveexec_b64 s[4:5], vcc
	s_cbranch_execz .LBB0_22
; %bb.21:
	ds_read_b128 v[0:3], v97
	ds_read_b128 v[4:7], v45 offset:384
	ds_read_b128 v[12:15], v45 offset:768
	;; [unrolled: 1-line block ×10, first 2 shown]
.LBB0_22:
	s_or_b64 exec, exec, s[4:5]
	s_waitcnt lgkmcnt(0)
	s_barrier
	s_and_saveexec_b64 s[4:5], vcc
	s_cbranch_execz .LBB0_24
; %bb.23:
	v_subrev_u32_e32 v48, 24, v44
	v_cndmask_b32_e32 v48, v48, v44, vcc
	v_mul_i32_i24_e32 v48, 10, v48
	v_mov_b32_e32 v49, 0
	v_lshlrev_b64 v[48:49], 4, v[48:49]
	v_mov_b32_e32 v50, s9
	v_add_co_u32_e32 v52, vcc, s8, v48
	v_addc_co_u32_e32 v53, vcc, v50, v49, vcc
	global_load_dwordx4 v[48:51], v[52:53], off offset:320
	global_load_dwordx4 v[54:57], v[52:53], off offset:336
	;; [unrolled: 1-line block ×10, first 2 shown]
	s_mov_b32 s6, 0x9bcd5057
	s_mov_b32 s8, 0xfd768dbf
	;; [unrolled: 1-line block ×30, first 2 shown]
	s_waitcnt vmcnt(9)
	v_mul_f64 v[52:53], v[20:21], v[50:51]
	s_waitcnt vmcnt(8)
	v_mul_f64 v[80:81], v[24:25], v[56:57]
	v_mul_f64 v[50:51], v[22:23], v[50:51]
	;; [unrolled: 1-line block ×3, first 2 shown]
	s_waitcnt vmcnt(6)
	v_mul_f64 v[102:103], v[32:33], v[66:67]
	v_mul_f64 v[104:105], v[34:35], v[66:67]
	s_waitcnt vmcnt(4)
	v_mul_f64 v[108:109], v[28:29], v[74:75]
	s_waitcnt vmcnt(2)
	;; [unrolled: 2-line block ×3, first 2 shown]
	v_mul_f64 v[116:117], v[40:41], v[88:89]
	v_mul_f64 v[110:111], v[30:31], v[74:75]
	;; [unrolled: 1-line block ×6, first 2 shown]
	s_waitcnt vmcnt(0)
	v_mul_f64 v[118:119], v[36:37], v[94:95]
	v_mul_f64 v[120:121], v[38:39], v[94:95]
	v_fma_f64 v[56:57], v[22:23], v[48:49], v[52:53]
	v_fma_f64 v[52:53], v[26:27], v[54:55], v[80:81]
	;; [unrolled: 1-line block ×4, first 2 shown]
	v_mul_f64 v[106:107], v[8:9], v[70:71]
	v_fma_f64 v[58:59], v[20:21], v[48:49], -v[50:51]
	v_fma_f64 v[54:55], v[24:25], v[54:55], -v[90:91]
	v_fma_f64 v[48:49], v[34:35], v[64:65], v[102:103]
	v_fma_f64 v[50:51], v[32:33], v[64:65], -v[104:105]
	v_fma_f64 v[78:79], v[14:15], v[76:77], v[74:75]
	v_fma_f64 v[80:81], v[12:13], v[76:77], -v[112:113]
	v_fma_f64 v[90:91], v[4:5], v[82:83], -v[84:85]
	;; [unrolled: 1-line block ×3, first 2 shown]
	v_fma_f64 v[32:33], v[38:39], v[92:93], v[118:119]
	v_fma_f64 v[34:35], v[36:37], v[92:93], -v[120:121]
	v_add_f64 v[92:93], v[94:95], v[26:27]
	v_add_f64 v[88:89], v[94:95], -v[26:27]
	v_mul_f64 v[98:99], v[16:17], v[62:63]
	v_mul_f64 v[70:71], v[10:11], v[70:71]
	v_fma_f64 v[74:75], v[10:11], v[68:69], v[106:107]
	v_fma_f64 v[36:37], v[30:31], v[72:73], v[108:109]
	v_fma_f64 v[38:39], v[28:29], v[72:73], -v[110:111]
	v_add_f64 v[86:87], v[90:91], -v[12:13]
	v_add_f64 v[82:83], v[78:79], v[32:33]
	v_add_f64 v[84:85], v[90:91], v[12:13]
	v_add_f64 v[72:73], v[78:79], -v[32:33]
	v_mul_f64 v[4:5], v[92:93], s[6:7]
	v_mul_f64 v[6:7], v[88:89], s[20:21]
	;; [unrolled: 1-line block ×3, first 2 shown]
	v_fma_f64 v[62:63], v[18:19], v[60:61], v[98:99]
	v_fma_f64 v[76:77], v[8:9], v[68:69], -v[70:71]
	v_add_f64 v[30:31], v[80:81], -v[34:35]
	v_add_f64 v[28:29], v[80:81], v[34:35]
	v_add_f64 v[70:71], v[74:75], v[36:37]
	v_add_f64 v[68:69], v[74:75], -v[36:37]
	v_mul_f64 v[8:9], v[82:83], s[10:11]
	v_mul_f64 v[10:11], v[72:73], s[34:35]
	v_fma_f64 v[106:107], v[86:87], s[8:9], v[4:5]
	v_fma_f64 v[108:109], v[84:85], s[6:7], v[6:7]
	v_fma_f64 v[66:67], v[16:17], v[60:61], -v[100:101]
	v_add_f64 v[24:25], v[76:77], -v[38:39]
	v_add_f64 v[22:23], v[76:77], v[38:39]
	v_add_f64 v[64:65], v[62:63], v[48:49]
	v_add_f64 v[60:61], v[62:63], -v[48:49]
	v_mul_f64 v[98:99], v[70:71], s[14:15]
	v_mul_f64 v[100:101], v[68:69], s[18:19]
	v_fma_f64 v[116:117], v[30:31], s[12:13], v[8:9]
	v_fma_f64 v[4:5], v[86:87], s[20:21], v[4:5]
	;; [unrolled: 1-line block ×3, first 2 shown]
	v_add_f64 v[106:107], v[2:3], v[106:107]
	v_add_f64 v[108:109], v[0:1], v[108:109]
	v_fma_f64 v[6:7], v[84:85], s[6:7], -v[6:7]
	v_add_f64 v[20:21], v[66:67], -v[50:51]
	v_add_f64 v[18:19], v[66:67], v[50:51]
	v_mul_f64 v[102:103], v[64:65], s[22:23]
	v_mul_f64 v[104:105], v[60:61], s[30:31]
	v_fma_f64 v[8:9], v[30:31], s[34:35], v[8:9]
	v_fma_f64 v[122:123], v[24:25], s[16:17], v[98:99]
	;; [unrolled: 1-line block ×3, first 2 shown]
	v_add_f64 v[4:5], v[2:3], v[4:5]
	v_add_f64 v[106:107], v[116:117], v[106:107]
	;; [unrolled: 1-line block ×3, first 2 shown]
	v_fma_f64 v[10:11], v[28:29], s[10:11], -v[10:11]
	v_add_f64 v[6:7], v[0:1], v[6:7]
	v_add_f64 v[42:43], v[56:57], v[52:53]
	v_add_f64 v[40:41], v[56:57], -v[52:53]
	v_mul_f64 v[114:115], v[92:93], s[14:15]
	v_fma_f64 v[98:99], v[24:25], s[18:19], v[98:99]
	v_fma_f64 v[116:117], v[20:21], s[36:37], v[102:103]
	;; [unrolled: 1-line block ×3, first 2 shown]
	v_add_f64 v[4:5], v[8:9], v[4:5]
	v_add_f64 v[8:9], v[122:123], v[106:107]
	;; [unrolled: 1-line block ×3, first 2 shown]
	v_mul_f64 v[108:109], v[88:89], s[18:19]
	v_fma_f64 v[100:101], v[22:23], s[14:15], -v[100:101]
	v_add_f64 v[6:7], v[10:11], v[6:7]
	v_add_f64 v[14:15], v[58:59], -v[54:55]
	v_add_f64 v[16:17], v[58:59], v[54:55]
	v_mul_f64 v[110:111], v[42:43], s[24:25]
	v_mul_f64 v[112:113], v[40:41], s[28:29]
	;; [unrolled: 1-line block ×3, first 2 shown]
	v_fma_f64 v[10:11], v[86:87], s[16:17], v[114:115]
	v_add_f64 v[98:99], v[98:99], v[4:5]
	v_add_f64 v[4:5], v[116:117], v[8:9]
	;; [unrolled: 1-line block ×3, first 2 shown]
	v_fma_f64 v[102:103], v[20:21], s[30:31], v[102:103]
	v_fma_f64 v[104:105], v[18:19], s[22:23], -v[104:105]
	v_add_f64 v[100:101], v[100:101], v[6:7]
	v_fma_f64 v[118:119], v[84:85], s[14:15], v[108:109]
	v_mul_f64 v[124:125], v[72:73], s[26:27]
	v_fma_f64 v[122:123], v[14:15], s[26:27], v[110:111]
	v_fma_f64 v[106:107], v[16:17], s[24:25], v[112:113]
	v_fma_f64 v[116:117], v[30:31], s[28:29], v[120:121]
	v_add_f64 v[10:11], v[2:3], v[10:11]
	v_add_f64 v[98:99], v[102:103], v[98:99]
	;; [unrolled: 1-line block ×4, first 2 shown]
	v_fma_f64 v[104:105], v[28:29], s[24:25], v[124:125]
	v_add_f64 v[6:7], v[122:123], v[4:5]
	v_add_f64 v[4:5], v[106:107], v[8:9]
	v_mul_f64 v[8:9], v[70:71], s[10:11]
	v_fma_f64 v[106:107], v[14:15], s[28:29], v[110:111]
	v_mul_f64 v[110:111], v[68:69], s[12:13]
	v_add_f64 v[116:117], v[116:117], v[10:11]
	v_fma_f64 v[10:11], v[86:87], s[18:19], v[114:115]
	v_add_f64 v[102:103], v[104:105], v[102:103]
	v_fma_f64 v[104:105], v[84:85], s[14:15], -v[108:109]
	v_mul_f64 v[118:119], v[64:65], s[6:7]
	v_fma_f64 v[114:115], v[24:25], s[34:35], v[8:9]
	v_mul_f64 v[122:123], v[60:61], s[20:21]
	v_fma_f64 v[108:109], v[22:23], s[10:11], v[110:111]
	v_fma_f64 v[120:121], v[30:31], s[26:27], v[120:121]
	v_add_f64 v[126:127], v[2:3], v[10:11]
	v_add_f64 v[10:11], v[106:107], v[98:99]
	v_fma_f64 v[106:107], v[28:29], s[24:25], -v[124:125]
	v_add_f64 v[104:105], v[0:1], v[104:105]
	v_add_f64 v[98:99], v[114:115], v[116:117]
	v_fma_f64 v[114:115], v[20:21], s[8:9], v[118:119]
	v_add_f64 v[102:103], v[108:109], v[102:103]
	v_fma_f64 v[108:109], v[18:19], s[6:7], v[122:123]
	;; [unrolled: 2-line block ×3, first 2 shown]
	v_mul_f64 v[120:121], v[92:93], s[24:25]
	v_mul_f64 v[124:125], v[42:43], s[22:23]
	v_add_f64 v[104:105], v[106:107], v[104:105]
	v_fma_f64 v[106:107], v[22:23], s[10:11], -v[110:111]
	v_mul_f64 v[110:111], v[40:41], s[30:31]
	v_fma_f64 v[112:113], v[16:17], s[24:25], -v[112:113]
	v_add_f64 v[98:99], v[114:115], v[98:99]
	v_add_f64 v[102:103], v[108:109], v[102:103]
	;; [unrolled: 1-line block ×3, first 2 shown]
	v_fma_f64 v[114:115], v[86:87], s[26:27], v[120:121]
	v_mul_f64 v[116:117], v[82:83], s[6:7]
	v_fma_f64 v[126:127], v[14:15], s[36:37], v[124:125]
	v_add_f64 v[104:105], v[106:107], v[104:105]
	v_fma_f64 v[106:107], v[16:17], s[22:23], v[110:111]
	v_fma_f64 v[118:119], v[20:21], s[20:21], v[118:119]
	v_fma_f64 v[122:123], v[18:19], s[6:7], -v[122:123]
	v_add_f64 v[8:9], v[112:113], v[100:101]
	v_add_f64 v[112:113], v[2:3], v[114:115]
	v_fma_f64 v[114:115], v[30:31], s[20:21], v[116:117]
	v_mul_f64 v[128:129], v[70:71], s[22:23]
	v_add_f64 v[100:101], v[126:127], v[98:99]
	v_add_f64 v[98:99], v[106:107], v[102:103]
	;; [unrolled: 1-line block ×4, first 2 shown]
	v_fma_f64 v[104:105], v[14:15], s[30:31], v[124:125]
	v_mul_f64 v[118:119], v[88:89], s[28:29]
	v_add_f64 v[108:109], v[114:115], v[112:113]
	v_fma_f64 v[112:113], v[24:25], s[36:37], v[128:129]
	v_mul_f64 v[114:115], v[92:93], s[22:23]
	v_mul_f64 v[126:127], v[72:73], s[8:9]
	;; [unrolled: 1-line block ×4, first 2 shown]
	v_add_f64 v[104:105], v[104:105], v[102:103]
	v_fma_f64 v[102:103], v[84:85], s[24:25], v[118:119]
	v_mul_f64 v[122:123], v[64:65], s[10:11]
	v_add_f64 v[108:109], v[112:113], v[108:109]
	v_fma_f64 v[112:113], v[86:87], s[36:37], v[114:115]
	v_fma_f64 v[138:139], v[28:29], s[6:7], v[126:127]
	;; [unrolled: 1-line block ×3, first 2 shown]
	v_mul_f64 v[144:145], v[70:71], s[6:7]
	v_mul_f64 v[150:151], v[60:61], s[12:13]
	v_add_f64 v[102:103], v[0:1], v[102:103]
	v_add_f64 v[94:95], v[2:3], v[94:95]
	v_fma_f64 v[132:133], v[20:21], s[34:35], v[122:123]
	v_add_f64 v[112:113], v[2:3], v[112:113]
	v_mul_f64 v[152:153], v[64:65], s[24:25]
	v_add_f64 v[90:91], v[0:1], v[90:91]
	v_fma_f64 v[110:111], v[16:17], s[22:23], -v[110:111]
	v_mul_f64 v[124:125], v[88:89], s[36:37]
	v_add_f64 v[102:103], v[138:139], v[102:103]
	v_fma_f64 v[138:139], v[22:23], s[22:23], v[140:141]
	v_add_f64 v[94:95], v[94:95], v[78:79]
	v_add_f64 v[112:113], v[142:143], v[112:113]
	v_fma_f64 v[142:143], v[24:25], s[8:9], v[144:145]
	v_add_f64 v[108:109], v[132:133], v[108:109]
	v_add_f64 v[90:91], v[90:91], v[80:81]
	v_mul_f64 v[92:93], v[92:93], s[10:11]
	v_mul_f64 v[88:89], v[88:89], s[12:13]
	v_add_f64 v[102:103], v[138:139], v[102:103]
	v_fma_f64 v[138:139], v[18:19], s[10:11], v[150:151]
	v_add_f64 v[74:75], v[94:95], v[74:75]
	v_add_f64 v[112:113], v[142:143], v[112:113]
	v_fma_f64 v[142:143], v[20:21], s[26:27], v[152:153]
	v_add_f64 v[76:77], v[90:91], v[76:77]
	v_fma_f64 v[134:135], v[84:85], s[22:23], -v[124:125]
	v_mul_f64 v[136:137], v[72:73], s[18:19]
	v_fma_f64 v[90:91], v[84:85], s[24:25], -v[118:119]
	v_add_f64 v[132:133], v[138:139], v[102:103]
	v_mul_f64 v[138:139], v[42:43], s[10:11]
	v_add_f64 v[62:63], v[74:75], v[62:63]
	v_add_f64 v[112:113], v[142:143], v[112:113]
	;; [unrolled: 1-line block ×3, first 2 shown]
	v_fma_f64 v[110:111], v[86:87], s[28:29], v[120:121]
	v_mul_f64 v[82:83], v[82:83], s[22:23]
	v_fma_f64 v[94:95], v[84:85], s[10:11], v[88:89]
	v_add_f64 v[66:67], v[76:77], v[66:67]
	v_fma_f64 v[142:143], v[14:15], s[34:35], v[138:139]
	v_mul_f64 v[72:73], v[72:73], s[36:37]
	v_add_f64 v[56:57], v[62:63], v[56:57]
	v_mul_f64 v[70:71], v[70:71], s[24:25]
	v_mul_f64 v[154:155], v[60:61], s[26:27]
	;; [unrolled: 1-line block ×4, first 2 shown]
	v_add_f64 v[58:59], v[66:67], v[58:59]
	v_add_f64 v[80:81], v[142:143], v[112:113]
	v_fma_f64 v[112:113], v[86:87], s[30:31], v[114:115]
	v_fma_f64 v[114:115], v[86:87], s[34:35], v[92:93]
	;; [unrolled: 1-line block ×4, first 2 shown]
	v_fma_f64 v[84:85], v[84:85], s[10:11], -v[88:89]
	v_fma_f64 v[62:63], v[28:29], s[22:23], -v[72:73]
	v_mul_f64 v[66:67], v[68:69], s[28:29]
	v_add_f64 v[52:53], v[56:57], v[52:53]
	v_add_f64 v[54:55], v[58:59], v[54:55]
	v_mul_f64 v[156:157], v[42:43], s[14:15]
	v_add_f64 v[76:77], v[2:3], v[86:87]
	v_fma_f64 v[86:87], v[30:31], s[36:37], v[82:83]
	v_add_f64 v[84:85], v[0:1], v[84:85]
	v_mul_f64 v[42:43], v[42:43], s[6:7]
	v_fma_f64 v[58:59], v[22:23], s[24:25], -v[66:67]
	v_add_f64 v[48:49], v[52:53], v[48:49]
	v_add_f64 v[50:51], v[54:55], v[50:51]
	v_fma_f64 v[52:53], v[20:21], s[18:19], v[64:65]
	v_add_f64 v[74:75], v[2:3], v[110:111]
	v_add_f64 v[76:77], v[86:87], v[76:77]
	v_fma_f64 v[86:87], v[24:25], s[28:29], v[70:71]
	v_add_f64 v[56:57], v[62:63], v[84:85]
	v_add_f64 v[62:63], v[2:3], v[112:113]
	v_mul_f64 v[148:149], v[68:69], s[8:9]
	v_add_f64 v[68:69], v[0:1], v[90:91]
	v_add_f64 v[134:135], v[0:1], v[134:135]
	v_fma_f64 v[146:147], v[28:29], s[14:15], -v[136:137]
	v_add_f64 v[84:85], v[0:1], v[92:93]
	v_add_f64 v[76:77], v[86:87], v[76:77]
	;; [unrolled: 1-line block ×3, first 2 shown]
	v_fma_f64 v[56:57], v[18:19], s[14:15], -v[60:61]
	v_add_f64 v[58:59], v[2:3], v[114:115]
	v_add_f64 v[2:3], v[48:49], v[36:37]
	;; [unrolled: 1-line block ×3, first 2 shown]
	v_fma_f64 v[38:39], v[30:31], s[8:9], v[116:117]
	v_add_f64 v[0:1], v[0:1], v[94:95]
	v_add_f64 v[48:49], v[52:53], v[76:77]
	v_fma_f64 v[52:53], v[14:15], s[20:21], v[42:43]
	v_add_f64 v[50:51], v[56:57], v[54:55]
	v_fma_f64 v[54:55], v[28:29], s[6:7], -v[126:127]
	v_add_f64 v[32:33], v[2:3], v[32:33]
	v_add_f64 v[34:35], v[36:37], v[34:35]
	;; [unrolled: 1-line block ×3, first 2 shown]
	v_fma_f64 v[38:39], v[24:25], s[30:31], v[128:129]
	v_fma_f64 v[56:57], v[30:31], s[16:17], v[130:131]
	v_add_f64 v[2:3], v[52:53], v[48:49]
	v_fma_f64 v[30:31], v[30:31], s[30:31], v[82:83]
	v_add_f64 v[48:49], v[54:55], v[68:69]
	v_fma_f64 v[54:55], v[28:29], s[14:15], v[136:137]
	v_fma_f64 v[28:29], v[28:29], s[22:23], v[72:73]
	v_add_f64 v[134:135], v[146:147], v[134:135]
	v_fma_f64 v[146:147], v[22:23], s[6:7], -v[148:149]
	v_add_f64 v[26:27], v[32:33], v[26:27]
	v_fma_f64 v[32:33], v[22:23], s[22:23], -v[140:141]
	v_add_f64 v[36:37], v[38:39], v[36:37]
	v_add_f64 v[38:39], v[56:57], v[62:63]
	v_fma_f64 v[56:57], v[24:25], s[20:21], v[144:145]
	v_add_f64 v[54:55], v[54:55], v[84:85]
	v_fma_f64 v[68:69], v[22:23], s[6:7], v[148:149]
	v_fma_f64 v[24:25], v[24:25], s[26:27], v[70:71]
	v_add_f64 v[30:31], v[30:31], v[58:59]
	v_fma_f64 v[22:23], v[22:23], s[24:25], v[66:67]
	v_add_f64 v[0:1], v[28:29], v[0:1]
	v_mul_f64 v[158:159], v[40:41], s[18:19]
	v_mul_f64 v[160:161], v[40:41], s[34:35]
	;; [unrolled: 1-line block ×3, first 2 shown]
	v_add_f64 v[134:135], v[146:147], v[134:135]
	v_fma_f64 v[146:147], v[18:19], s[24:25], -v[154:155]
	v_fma_f64 v[62:63], v[20:21], s[12:13], v[122:123]
	v_add_f64 v[32:33], v[32:33], v[48:49]
	v_fma_f64 v[48:49], v[18:19], s[10:11], -v[150:151]
	v_add_f64 v[38:39], v[56:57], v[38:39]
	v_fma_f64 v[56:57], v[20:21], s[28:29], v[152:153]
	v_add_f64 v[54:55], v[68:69], v[54:55]
	v_fma_f64 v[58:59], v[18:19], s[24:25], v[154:155]
	v_fma_f64 v[20:21], v[20:21], s[16:17], v[64:65]
	v_add_f64 v[24:25], v[24:25], v[30:31]
	v_fma_f64 v[18:19], v[18:19], s[14:15], v[60:61]
	v_add_f64 v[0:1], v[22:23], v[0:1]
	v_fma_f64 v[52:53], v[16:17], s[6:7], -v[40:41]
	v_add_f64 v[134:135], v[146:147], v[134:135]
	v_fma_f64 v[146:147], v[16:17], s[10:11], -v[160:161]
	v_add_f64 v[28:29], v[62:63], v[36:37]
	v_add_f64 v[32:33], v[48:49], v[32:33]
	v_fma_f64 v[22:23], v[14:15], s[18:19], v[156:157]
	v_fma_f64 v[48:49], v[16:17], s[14:15], -v[158:159]
	v_fma_f64 v[162:163], v[14:15], s[16:17], v[156:157]
	v_fma_f64 v[164:165], v[16:17], s[14:15], v[158:159]
	v_add_f64 v[36:37], v[56:57], v[38:39]
	v_add_f64 v[30:31], v[58:59], v[54:55]
	v_fma_f64 v[38:39], v[14:15], s[12:13], v[138:139]
	v_fma_f64 v[42:43], v[14:15], s[8:9], v[42:43]
	v_add_f64 v[20:21], v[20:21], v[24:25]
	v_fma_f64 v[54:55], v[16:17], s[10:11], v[160:161]
	v_fma_f64 v[40:41], v[16:17], s[6:7], v[40:41]
	v_add_f64 v[56:57], v[18:19], v[0:1]
	v_add_f64 v[24:25], v[34:35], v[12:13]
	;; [unrolled: 1-line block ×12, first 2 shown]
	ds_write_b128 v97, v[24:27]
	ds_write_b128 v45, v[0:3] offset:384
	ds_write_b128 v45, v[78:81] offset:768
	;; [unrolled: 1-line block ×10, first 2 shown]
.LBB0_24:
	s_or_b64 exec, exec, s[4:5]
	s_waitcnt lgkmcnt(0)
	s_barrier
	s_and_saveexec_b64 s[4:5], s[0:1]
	s_cbranch_execz .LBB0_26
; %bb.25:
	v_lshl_add_u32 v10, v44, 4, v96
	v_mov_b32_e32 v45, 0
	ds_read_b128 v[0:3], v10
	v_mov_b32_e32 v4, s3
	v_add_co_u32_e32 v11, vcc, s2, v46
	v_addc_co_u32_e32 v12, vcc, v4, v47, vcc
	v_lshlrev_b64 v[4:5], 4, v[44:45]
	v_add_co_u32_e32 v8, vcc, v11, v4
	v_addc_co_u32_e32 v9, vcc, v12, v5, vcc
	ds_read_b128 v[4:7], v10 offset:528
	s_waitcnt lgkmcnt(1)
	global_store_dwordx4 v[8:9], v[0:3], off
	s_nop 0
	v_add_u32_e32 v0, 33, v44
	v_mov_b32_e32 v1, v45
	v_lshlrev_b64 v[0:1], 4, v[0:1]
	v_add_co_u32_e32 v0, vcc, v11, v0
	v_addc_co_u32_e32 v1, vcc, v12, v1, vcc
	s_waitcnt lgkmcnt(0)
	global_store_dwordx4 v[0:1], v[4:7], off
	ds_read_b128 v[0:3], v10 offset:1056
	v_add_u32_e32 v4, 0x42, v44
	v_mov_b32_e32 v5, v45
	v_lshlrev_b64 v[4:5], 4, v[4:5]
	v_add_co_u32_e32 v8, vcc, v11, v4
	v_addc_co_u32_e32 v9, vcc, v12, v5, vcc
	ds_read_b128 v[4:7], v10 offset:1584
	s_waitcnt lgkmcnt(1)
	global_store_dwordx4 v[8:9], v[0:3], off
	s_nop 0
	v_add_u32_e32 v0, 0x63, v44
	v_mov_b32_e32 v1, v45
	v_lshlrev_b64 v[0:1], 4, v[0:1]
	v_add_co_u32_e32 v0, vcc, v11, v0
	v_addc_co_u32_e32 v1, vcc, v12, v1, vcc
	s_waitcnt lgkmcnt(0)
	global_store_dwordx4 v[0:1], v[4:7], off
	ds_read_b128 v[0:3], v10 offset:2112
	v_add_u32_e32 v4, 0x84, v44
	v_mov_b32_e32 v5, v45
	;; [unrolled: 17-line block ×3, first 2 shown]
	v_lshlrev_b64 v[4:5], 4, v[4:5]
	v_add_u32_e32 v44, 0xe7, v44
	v_add_co_u32_e32 v8, vcc, v11, v4
	v_addc_co_u32_e32 v9, vcc, v12, v5, vcc
	ds_read_b128 v[4:7], v10 offset:3696
	s_waitcnt lgkmcnt(1)
	global_store_dwordx4 v[8:9], v[0:3], off
	s_nop 0
	v_lshlrev_b64 v[0:1], 4, v[44:45]
	v_add_co_u32_e32 v0, vcc, v11, v0
	v_addc_co_u32_e32 v1, vcc, v12, v1, vcc
	s_waitcnt lgkmcnt(0)
	global_store_dwordx4 v[0:1], v[4:7], off
.LBB0_26:
	s_endpgm
	.section	.rodata,"a",@progbits
	.p2align	6, 0x0
	.amdhsa_kernel fft_rtc_fwd_len264_factors_8_3_11_wgs_231_tpt_33_dp_ip_CI_unitstride_sbrr_C2R_dirReg
		.amdhsa_group_segment_fixed_size 0
		.amdhsa_private_segment_fixed_size 0
		.amdhsa_kernarg_size 88
		.amdhsa_user_sgpr_count 6
		.amdhsa_user_sgpr_private_segment_buffer 1
		.amdhsa_user_sgpr_dispatch_ptr 0
		.amdhsa_user_sgpr_queue_ptr 0
		.amdhsa_user_sgpr_kernarg_segment_ptr 1
		.amdhsa_user_sgpr_dispatch_id 0
		.amdhsa_user_sgpr_flat_scratch_init 0
		.amdhsa_user_sgpr_private_segment_size 0
		.amdhsa_uses_dynamic_stack 0
		.amdhsa_system_sgpr_private_segment_wavefront_offset 0
		.amdhsa_system_sgpr_workgroup_id_x 1
		.amdhsa_system_sgpr_workgroup_id_y 0
		.amdhsa_system_sgpr_workgroup_id_z 0
		.amdhsa_system_sgpr_workgroup_info 0
		.amdhsa_system_vgpr_workitem_id 0
		.amdhsa_next_free_vgpr 166
		.amdhsa_next_free_sgpr 38
		.amdhsa_reserve_vcc 1
		.amdhsa_reserve_flat_scratch 0
		.amdhsa_float_round_mode_32 0
		.amdhsa_float_round_mode_16_64 0
		.amdhsa_float_denorm_mode_32 3
		.amdhsa_float_denorm_mode_16_64 3
		.amdhsa_dx10_clamp 1
		.amdhsa_ieee_mode 1
		.amdhsa_fp16_overflow 0
		.amdhsa_exception_fp_ieee_invalid_op 0
		.amdhsa_exception_fp_denorm_src 0
		.amdhsa_exception_fp_ieee_div_zero 0
		.amdhsa_exception_fp_ieee_overflow 0
		.amdhsa_exception_fp_ieee_underflow 0
		.amdhsa_exception_fp_ieee_inexact 0
		.amdhsa_exception_int_div_zero 0
	.end_amdhsa_kernel
	.text
.Lfunc_end0:
	.size	fft_rtc_fwd_len264_factors_8_3_11_wgs_231_tpt_33_dp_ip_CI_unitstride_sbrr_C2R_dirReg, .Lfunc_end0-fft_rtc_fwd_len264_factors_8_3_11_wgs_231_tpt_33_dp_ip_CI_unitstride_sbrr_C2R_dirReg
                                        ; -- End function
	.section	.AMDGPU.csdata,"",@progbits
; Kernel info:
; codeLenInByte = 7396
; NumSgprs: 42
; NumVgprs: 166
; ScratchSize: 0
; MemoryBound: 0
; FloatMode: 240
; IeeeMode: 1
; LDSByteSize: 0 bytes/workgroup (compile time only)
; SGPRBlocks: 5
; VGPRBlocks: 41
; NumSGPRsForWavesPerEU: 42
; NumVGPRsForWavesPerEU: 166
; Occupancy: 1
; WaveLimiterHint : 1
; COMPUTE_PGM_RSRC2:SCRATCH_EN: 0
; COMPUTE_PGM_RSRC2:USER_SGPR: 6
; COMPUTE_PGM_RSRC2:TRAP_HANDLER: 0
; COMPUTE_PGM_RSRC2:TGID_X_EN: 1
; COMPUTE_PGM_RSRC2:TGID_Y_EN: 0
; COMPUTE_PGM_RSRC2:TGID_Z_EN: 0
; COMPUTE_PGM_RSRC2:TIDIG_COMP_CNT: 0
	.type	__hip_cuid_a0424102cf6cfaed,@object ; @__hip_cuid_a0424102cf6cfaed
	.section	.bss,"aw",@nobits
	.globl	__hip_cuid_a0424102cf6cfaed
__hip_cuid_a0424102cf6cfaed:
	.byte	0                               ; 0x0
	.size	__hip_cuid_a0424102cf6cfaed, 1

	.ident	"AMD clang version 19.0.0git (https://github.com/RadeonOpenCompute/llvm-project roc-6.4.0 25133 c7fe45cf4b819c5991fe208aaa96edf142730f1d)"
	.section	".note.GNU-stack","",@progbits
	.addrsig
	.addrsig_sym __hip_cuid_a0424102cf6cfaed
	.amdgpu_metadata
---
amdhsa.kernels:
  - .args:
      - .actual_access:  read_only
        .address_space:  global
        .offset:         0
        .size:           8
        .value_kind:     global_buffer
      - .offset:         8
        .size:           8
        .value_kind:     by_value
      - .actual_access:  read_only
        .address_space:  global
        .offset:         16
        .size:           8
        .value_kind:     global_buffer
      - .actual_access:  read_only
        .address_space:  global
        .offset:         24
        .size:           8
        .value_kind:     global_buffer
      - .offset:         32
        .size:           8
        .value_kind:     by_value
      - .actual_access:  read_only
        .address_space:  global
        .offset:         40
        .size:           8
        .value_kind:     global_buffer
      - .actual_access:  read_only
        .address_space:  global
        .offset:         48
        .size:           8
        .value_kind:     global_buffer
      - .offset:         56
        .size:           4
        .value_kind:     by_value
      - .actual_access:  read_only
        .address_space:  global
        .offset:         64
        .size:           8
        .value_kind:     global_buffer
      - .actual_access:  read_only
        .address_space:  global
        .offset:         72
        .size:           8
        .value_kind:     global_buffer
      - .address_space:  global
        .offset:         80
        .size:           8
        .value_kind:     global_buffer
    .group_segment_fixed_size: 0
    .kernarg_segment_align: 8
    .kernarg_segment_size: 88
    .language:       OpenCL C
    .language_version:
      - 2
      - 0
    .max_flat_workgroup_size: 231
    .name:           fft_rtc_fwd_len264_factors_8_3_11_wgs_231_tpt_33_dp_ip_CI_unitstride_sbrr_C2R_dirReg
    .private_segment_fixed_size: 0
    .sgpr_count:     42
    .sgpr_spill_count: 0
    .symbol:         fft_rtc_fwd_len264_factors_8_3_11_wgs_231_tpt_33_dp_ip_CI_unitstride_sbrr_C2R_dirReg.kd
    .uniform_work_group_size: 1
    .uses_dynamic_stack: false
    .vgpr_count:     166
    .vgpr_spill_count: 0
    .wavefront_size: 64
amdhsa.target:   amdgcn-amd-amdhsa--gfx906
amdhsa.version:
  - 1
  - 2
...

	.end_amdgpu_metadata
